;; amdgpu-corpus repo=ROCm/rocFFT kind=compiled arch=gfx950 opt=O3
	.text
	.amdgcn_target "amdgcn-amd-amdhsa--gfx950"
	.amdhsa_code_object_version 6
	.protected	fft_rtc_fwd_len1331_factors_11_11_11_wgs_242_tpt_121_halfLds_sp_op_CI_CI_sbrr_dirReg ; -- Begin function fft_rtc_fwd_len1331_factors_11_11_11_wgs_242_tpt_121_halfLds_sp_op_CI_CI_sbrr_dirReg
	.globl	fft_rtc_fwd_len1331_factors_11_11_11_wgs_242_tpt_121_halfLds_sp_op_CI_CI_sbrr_dirReg
	.p2align	8
	.type	fft_rtc_fwd_len1331_factors_11_11_11_wgs_242_tpt_121_halfLds_sp_op_CI_CI_sbrr_dirReg,@function
fft_rtc_fwd_len1331_factors_11_11_11_wgs_242_tpt_121_halfLds_sp_op_CI_CI_sbrr_dirReg: ; @fft_rtc_fwd_len1331_factors_11_11_11_wgs_242_tpt_121_halfLds_sp_op_CI_CI_sbrr_dirReg
; %bb.0:
	s_load_dwordx4 s[12:15], s[0:1], 0x18
	s_load_dwordx4 s[4:7], s[0:1], 0x0
	;; [unrolled: 1-line block ×3, first 2 shown]
	v_mul_u32_u24_e32 v1, 0x21e, v0
	v_lshrrev_b32_e32 v1, 16, v1
	s_waitcnt lgkmcnt(0)
	s_load_dwordx2 s[18:19], s[12:13], 0x0
	s_load_dwordx2 s[16:17], s[14:15], 0x0
	v_lshl_add_u32 v8, s2, 1, v1
	v_mov_b32_e32 v6, 0
	v_cmp_lt_u64_e64 s[2:3], s[6:7], 2
	v_mov_b32_e32 v9, v6
	s_and_b64 vcc, exec, s[2:3]
	v_mov_b64_e32 v[28:29], 0
	s_cbranch_vccnz .LBB0_8
; %bb.1:
	s_load_dwordx2 s[2:3], s[0:1], 0x10
	s_add_u32 s20, s14, 8
	s_addc_u32 s21, s15, 0
	s_add_u32 s22, s12, 8
	s_addc_u32 s23, s13, 0
	s_waitcnt lgkmcnt(0)
	s_add_u32 s24, s2, 8
	v_mov_b64_e32 v[28:29], 0
	s_addc_u32 s25, s3, 0
	s_mov_b64 s[26:27], 1
	v_mov_b64_e32 v[2:3], v[28:29]
.LBB0_2:                                ; =>This Inner Loop Header: Depth=1
	s_load_dwordx2 s[28:29], s[24:25], 0x0
                                        ; implicit-def: $vgpr4_vgpr5
	s_waitcnt lgkmcnt(0)
	v_or_b32_e32 v7, s29, v9
	v_cmp_ne_u64_e32 vcc, 0, v[6:7]
	s_and_saveexec_b64 s[2:3], vcc
	s_xor_b64 s[30:31], exec, s[2:3]
	s_cbranch_execz .LBB0_4
; %bb.3:                                ;   in Loop: Header=BB0_2 Depth=1
	v_cvt_f32_u32_e32 v4, s28
	v_cvt_f32_u32_e32 v5, s29
	s_sub_u32 s2, 0, s28
	s_subb_u32 s3, 0, s29
	v_fmac_f32_e32 v4, 0x4f800000, v5
	v_rcp_f32_e32 v4, v4
	s_nop 0
	v_mul_f32_e32 v4, 0x5f7ffffc, v4
	v_mul_f32_e32 v5, 0x2f800000, v4
	v_trunc_f32_e32 v5, v5
	v_fmac_f32_e32 v4, 0xcf800000, v5
	v_cvt_u32_f32_e32 v7, v5
	v_cvt_u32_f32_e32 v12, v4
	v_mul_lo_u32 v4, s2, v7
	v_mul_hi_u32 v10, s2, v12
	v_mul_lo_u32 v5, s3, v12
	v_add_u32_e32 v10, v10, v4
	v_mul_lo_u32 v13, s2, v12
	v_add_u32_e32 v14, v10, v5
	v_mul_hi_u32 v4, v12, v13
	v_mul_hi_u32 v11, v12, v14
	v_mul_lo_u32 v10, v12, v14
	v_mov_b32_e32 v5, v6
	v_lshl_add_u64 v[4:5], v[4:5], 0, v[10:11]
	v_mul_hi_u32 v11, v7, v13
	v_mul_lo_u32 v13, v7, v13
	v_add_co_u32_e32 v4, vcc, v4, v13
	v_mul_hi_u32 v10, v7, v14
	s_nop 0
	v_addc_co_u32_e32 v4, vcc, v5, v11, vcc
	v_mov_b32_e32 v5, v6
	s_nop 0
	v_addc_co_u32_e32 v11, vcc, 0, v10, vcc
	v_mul_lo_u32 v10, v7, v14
	v_lshl_add_u64 v[4:5], v[4:5], 0, v[10:11]
	v_add_co_u32_e32 v12, vcc, v12, v4
	v_mul_lo_u32 v10, s2, v12
	s_nop 0
	v_addc_co_u32_e32 v7, vcc, v7, v5, vcc
	v_mul_lo_u32 v4, s2, v7
	v_mul_hi_u32 v5, s2, v12
	v_add_u32_e32 v4, v5, v4
	v_mul_lo_u32 v5, s3, v12
	v_add_u32_e32 v13, v4, v5
	v_mul_hi_u32 v15, v7, v10
	v_mul_lo_u32 v16, v7, v10
	v_mul_hi_u32 v5, v12, v13
	v_mul_lo_u32 v4, v12, v13
	v_mul_hi_u32 v10, v12, v10
	v_mov_b32_e32 v11, v6
	v_lshl_add_u64 v[4:5], v[10:11], 0, v[4:5]
	v_add_co_u32_e32 v4, vcc, v4, v16
	v_mul_hi_u32 v14, v7, v13
	s_nop 0
	v_addc_co_u32_e32 v4, vcc, v5, v15, vcc
	v_mul_lo_u32 v10, v7, v13
	s_nop 0
	v_addc_co_u32_e32 v11, vcc, 0, v14, vcc
	v_mov_b32_e32 v5, v6
	v_lshl_add_u64 v[4:5], v[4:5], 0, v[10:11]
	v_add_co_u32_e32 v12, vcc, v12, v4
	v_mul_hi_u32 v10, v8, v12
	s_nop 0
	v_addc_co_u32_e32 v7, vcc, v7, v5, vcc
	v_mad_u64_u32 v[4:5], s[2:3], v8, v7, 0
	v_mov_b32_e32 v11, v6
	v_lshl_add_u64 v[4:5], v[10:11], 0, v[4:5]
	v_mad_u64_u32 v[12:13], s[2:3], v9, v12, 0
	v_add_co_u32_e32 v4, vcc, v4, v12
	v_mad_u64_u32 v[10:11], s[2:3], v9, v7, 0
	s_nop 0
	v_addc_co_u32_e32 v4, vcc, v5, v13, vcc
	v_mov_b32_e32 v5, v6
	s_nop 0
	v_addc_co_u32_e32 v11, vcc, 0, v11, vcc
	v_lshl_add_u64 v[4:5], v[4:5], 0, v[10:11]
	v_mul_lo_u32 v7, s29, v4
	v_mul_lo_u32 v12, s28, v5
	v_mad_u64_u32 v[10:11], s[2:3], s28, v4, 0
	v_add3_u32 v7, v11, v12, v7
	v_sub_u32_e32 v11, v9, v7
	v_mov_b32_e32 v12, s29
	v_sub_co_u32_e32 v14, vcc, v8, v10
	s_nop 1
	v_subb_co_u32_e64 v10, s[2:3], v11, v12, vcc
	v_subrev_co_u32_e64 v11, s[2:3], s28, v14
	v_subb_co_u32_e32 v7, vcc, v9, v7, vcc
	s_nop 0
	v_subbrev_co_u32_e64 v10, s[2:3], 0, v10, s[2:3]
	v_cmp_le_u32_e64 s[2:3], s29, v10
	v_cmp_le_u32_e32 vcc, s29, v7
	s_nop 0
	v_cndmask_b32_e64 v12, 0, -1, s[2:3]
	v_cmp_le_u32_e64 s[2:3], s28, v11
	s_nop 1
	v_cndmask_b32_e64 v11, 0, -1, s[2:3]
	v_cmp_eq_u32_e64 s[2:3], s29, v10
	s_nop 1
	v_cndmask_b32_e64 v15, v12, v11, s[2:3]
	v_lshl_add_u64 v[10:11], v[4:5], 0, 2
	v_lshl_add_u64 v[12:13], v[4:5], 0, 1
	v_cmp_ne_u32_e64 s[2:3], 0, v15
	s_nop 1
	v_cndmask_b32_e64 v11, v13, v11, s[2:3]
	v_cndmask_b32_e64 v13, 0, -1, vcc
	v_cmp_le_u32_e32 vcc, s28, v14
	s_nop 1
	v_cndmask_b32_e64 v14, 0, -1, vcc
	v_cmp_eq_u32_e32 vcc, s29, v7
	s_nop 1
	v_cndmask_b32_e32 v7, v13, v14, vcc
	v_cmp_ne_u32_e32 vcc, 0, v7
	v_cndmask_b32_e64 v7, v12, v10, s[2:3]
	s_nop 0
	v_cndmask_b32_e32 v5, v5, v11, vcc
	v_cndmask_b32_e32 v4, v4, v7, vcc
.LBB0_4:                                ;   in Loop: Header=BB0_2 Depth=1
	s_andn2_saveexec_b64 s[2:3], s[30:31]
	s_cbranch_execz .LBB0_6
; %bb.5:                                ;   in Loop: Header=BB0_2 Depth=1
	v_cvt_f32_u32_e32 v4, s28
	s_sub_i32 s30, 0, s28
	v_rcp_iflag_f32_e32 v4, v4
	s_nop 0
	v_mul_f32_e32 v4, 0x4f7ffffe, v4
	v_cvt_u32_f32_e32 v4, v4
	v_mul_lo_u32 v5, s30, v4
	v_mul_hi_u32 v5, v4, v5
	v_add_u32_e32 v4, v4, v5
	v_mul_hi_u32 v4, v8, v4
	v_mul_lo_u32 v5, v4, s28
	v_sub_u32_e32 v5, v8, v5
	v_add_u32_e32 v7, 1, v4
	v_subrev_u32_e32 v10, s28, v5
	v_cmp_le_u32_e32 vcc, s28, v5
	s_nop 1
	v_cndmask_b32_e32 v5, v5, v10, vcc
	v_cndmask_b32_e32 v4, v4, v7, vcc
	v_add_u32_e32 v7, 1, v4
	v_cmp_le_u32_e32 vcc, s28, v5
	v_mov_b32_e32 v5, v6
	s_nop 0
	v_cndmask_b32_e32 v4, v4, v7, vcc
.LBB0_6:                                ;   in Loop: Header=BB0_2 Depth=1
	s_or_b64 exec, exec, s[2:3]
	v_mad_u64_u32 v[10:11], s[2:3], v4, s28, 0
	s_load_dwordx2 s[2:3], s[22:23], 0x0
	v_mul_lo_u32 v7, v5, s28
	v_mul_lo_u32 v12, v4, s29
	s_load_dwordx2 s[28:29], s[20:21], 0x0
	s_add_u32 s26, s26, 1
	v_add3_u32 v7, v11, v12, v7
	v_sub_co_u32_e32 v8, vcc, v8, v10
	s_addc_u32 s27, s27, 0
	s_nop 0
	v_subb_co_u32_e32 v7, vcc, v9, v7, vcc
	s_add_u32 s20, s20, 8
	s_waitcnt lgkmcnt(0)
	v_mul_lo_u32 v9, s2, v7
	v_mul_lo_u32 v10, s3, v8
	v_mad_u64_u32 v[28:29], s[2:3], s2, v8, v[28:29]
	s_addc_u32 s21, s21, 0
	v_add3_u32 v29, v10, v29, v9
	v_mul_lo_u32 v7, s28, v7
	v_mul_lo_u32 v9, s29, v8
	v_mad_u64_u32 v[2:3], s[2:3], s28, v8, v[2:3]
	s_add_u32 s22, s22, 8
	v_add3_u32 v3, v9, v3, v7
	s_addc_u32 s23, s23, 0
	v_mov_b64_e32 v[8:9], s[6:7]
	s_add_u32 s24, s24, 8
	v_cmp_ge_u64_e32 vcc, s[26:27], v[8:9]
	s_addc_u32 s25, s25, 0
	s_cbranch_vccnz .LBB0_9
; %bb.7:                                ;   in Loop: Header=BB0_2 Depth=1
	v_mov_b64_e32 v[8:9], v[4:5]
	s_branch .LBB0_2
.LBB0_8:
	v_mov_b64_e32 v[2:3], v[28:29]
	v_mov_b64_e32 v[4:5], v[8:9]
.LBB0_9:
	s_load_dwordx2 s[0:1], s[0:1], 0x28
	s_lshl_b64 s[2:3], s[6:7], 3
	s_add_u32 s24, s14, s2
	s_addc_u32 s25, s15, s3
                                        ; implicit-def: $sgpr6_sgpr7
                                        ; implicit-def: $sgpr14
                                        ; implicit-def: $vgpr45
	s_waitcnt lgkmcnt(0)
	v_cmp_gt_u64_e32 vcc, s[0:1], v[4:5]
	v_cmp_le_u64_e64 s[0:1], s[0:1], v[4:5]
	s_and_saveexec_b64 s[20:21], s[0:1]
	s_xor_b64 s[0:1], exec, s[20:21]
; %bb.10:
	s_mov_b32 s6, 0x21d9eae
	v_mul_hi_u32 v6, v0, s6
	v_mul_u32_u24_e32 v6, 0x79, v6
	v_sub_u32_e32 v45, v0, v6
	s_mov_b32 s14, 0
	s_mov_b64 s[6:7], 0
                                        ; implicit-def: $vgpr0
                                        ; implicit-def: $vgpr28_vgpr29
; %bb.11:
	s_or_saveexec_b64 s[0:1], s[0:1]
	v_mov_b32_e32 v44, s14
	v_mov_b64_e32 v[6:7], s[6:7]
                                        ; implicit-def: $vgpr26
                                        ; implicit-def: $vgpr10
                                        ; implicit-def: $vgpr24
                                        ; implicit-def: $vgpr20
                                        ; implicit-def: $vgpr16
                                        ; implicit-def: $vgpr12
                                        ; implicit-def: $vgpr18
                                        ; implicit-def: $vgpr22
                                        ; implicit-def: $vgpr8
                                        ; implicit-def: $vgpr14
	s_xor_b64 exec, exec, s[0:1]
	s_cbranch_execz .LBB0_13
; %bb.12:
	s_add_u32 s2, s12, s2
	s_addc_u32 s3, s13, s3
	s_load_dwordx2 s[2:3], s[2:3], 0x0
	s_mov_b32 s6, 0x21d9eae
	s_waitcnt lgkmcnt(0)
	v_mul_lo_u32 v8, s3, v4
	v_mul_lo_u32 v9, s2, v5
	v_mad_u64_u32 v[6:7], s[2:3], s2, v4, 0
	v_add3_u32 v7, v7, v9, v8
	v_mul_hi_u32 v8, v0, s6
	v_mul_u32_u24_e32 v8, 0x79, v8
	v_sub_u32_e32 v45, v0, v8
	v_mad_u64_u32 v[8:9], s[2:3], s18, v45, 0
	v_mov_b32_e32 v0, v9
	v_mad_u64_u32 v[10:11], s[2:3], s19, v45, v[0:1]
	v_mov_b32_e32 v9, v10
	v_lshl_add_u64 v[6:7], v[6:7], 3, s[8:9]
	v_add_u32_e32 v10, 0x79, v45
	v_lshl_add_u64 v[12:13], v[28:29], 3, v[6:7]
	v_mad_u64_u32 v[6:7], s[2:3], s18, v10, 0
	v_mov_b32_e32 v0, v7
	v_mad_u64_u32 v[10:11], s[2:3], s19, v10, v[0:1]
	v_mov_b32_e32 v7, v10
	v_add_u32_e32 v10, 0xf2, v45
	v_lshl_add_u64 v[14:15], v[6:7], 3, v[12:13]
	v_mad_u64_u32 v[6:7], s[2:3], s18, v10, 0
	v_mov_b32_e32 v0, v7
	v_mad_u64_u32 v[10:11], s[2:3], s19, v10, v[0:1]
	v_mov_b32_e32 v7, v10
	v_add_u32_e32 v10, 0x16b, v45
	v_lshl_add_u64 v[16:17], v[6:7], 3, v[12:13]
	v_mad_u64_u32 v[6:7], s[2:3], s18, v10, 0
	v_mov_b32_e32 v0, v7
	v_mad_u64_u32 v[10:11], s[2:3], s19, v10, v[0:1]
	v_lshl_add_u64 v[8:9], v[8:9], 3, v[12:13]
	v_mov_b32_e32 v7, v10
	v_lshl_add_u64 v[18:19], v[6:7], 3, v[12:13]
	global_load_dwordx2 v[6:7], v[8:9], off
	global_load_dwordx2 v[28:29], v[14:15], off
	;; [unrolled: 1-line block ×4, first 2 shown]
	v_add_u32_e32 v14, 0x1e4, v45
	v_mad_u64_u32 v[8:9], s[2:3], s18, v14, 0
	v_mov_b32_e32 v0, v9
	v_mad_u64_u32 v[14:15], s[2:3], s19, v14, v[0:1]
	v_mov_b32_e32 v9, v14
	v_add_u32_e32 v14, 0x25d, v45
	v_lshl_add_u64 v[18:19], v[8:9], 3, v[12:13]
	v_mad_u64_u32 v[8:9], s[2:3], s18, v14, 0
	v_mov_b32_e32 v0, v9
	v_mad_u64_u32 v[14:15], s[2:3], s19, v14, v[0:1]
	v_mov_b32_e32 v9, v14
	v_add_u32_e32 v14, 0x2d6, v45
	v_lshl_add_u64 v[22:23], v[8:9], 3, v[12:13]
	;; [unrolled: 6-line block ×3, first 2 shown]
	v_mad_u64_u32 v[8:9], s[2:3], s18, v14, 0
	v_mov_b32_e32 v0, v9
	v_mad_u64_u32 v[14:15], s[2:3], s19, v14, v[0:1]
	v_mov_b32_e32 v9, v14
	v_lshl_add_u64 v[30:31], v[8:9], 3, v[12:13]
	global_load_dwordx2 v[20:21], v[18:19], off
	global_load_dwordx2 v[16:17], v[22:23], off
	;; [unrolled: 1-line block ×4, first 2 shown]
	v_add_u32_e32 v22, 0x3c8, v45
	v_mad_u64_u32 v[18:19], s[2:3], s18, v22, 0
	v_mov_b32_e32 v0, v19
	v_mad_u64_u32 v[22:23], s[2:3], s19, v22, v[0:1]
	v_mov_b32_e32 v19, v22
	v_add_u32_e32 v22, 0x441, v45
	v_lshl_add_u64 v[26:27], v[18:19], 3, v[12:13]
	v_mad_u64_u32 v[18:19], s[2:3], s18, v22, 0
	v_mov_b32_e32 v0, v19
	v_mad_u64_u32 v[22:23], s[2:3], s19, v22, v[0:1]
	v_mov_b32_e32 v19, v22
	v_add_u32_e32 v22, 0x4ba, v45
	v_lshl_add_u64 v[30:31], v[18:19], 3, v[12:13]
	v_mad_u64_u32 v[18:19], s[2:3], s18, v22, 0
	v_mov_b32_e32 v0, v19
	v_mad_u64_u32 v[22:23], s[2:3], s19, v22, v[0:1]
	v_mov_b32_e32 v19, v22
	v_lshl_add_u64 v[32:33], v[18:19], 3, v[12:13]
	global_load_dwordx2 v[22:23], v[26:27], off
	global_load_dwordx2 v[18:19], v[30:31], off
	;; [unrolled: 1-line block ×3, first 2 shown]
	v_mov_b32_e32 v44, v45
	s_waitcnt vmcnt(9)
	v_mov_b32_e32 v27, v29
	s_waitcnt vmcnt(7)
	v_mov_b32_e32 v26, v11
	v_mov_b32_e32 v11, v28
.LBB0_13:
	s_or_b64 exec, exec, s[0:1]
	v_and_b32_e32 v0, 1, v1
	v_cmp_eq_u32_e64 s[0:1], 1, v0
	v_add_f32_e32 v0, v11, v6
	v_add_f32_e32 v48, v24, v0
	s_mov_b32 s6, 0xbf27a4f4
	s_mov_b32 s12, 0xbf75a155
	s_waitcnt vmcnt(0)
	v_mov_b32_e32 v49, v12
	v_mov_b32_e32 v1, 0x14cc
	s_mov_b32 s2, 0xbe11bafb
	s_mov_b32 s7, 0xbf4178ce
	;; [unrolled: 1-line block ×3, first 2 shown]
	v_pk_add_f32 v[48:49], v[10:11], v[48:49]
	s_mov_b32 s26, s6
	s_mov_b32 s27, s12
	v_cndmask_b32_e64 v46, 0, v1, s[0:1]
	v_pk_add_f32 v[42:43], v[26:27], v[12:13] neg_lo:[0,1] neg_hi:[0,1]
	s_mov_b32 s8, 0x3f7d64f0
	v_pk_add_f32 v[0:1], v[24:25], v[18:19]
	v_mov_b32_e32 v32, v10
	v_mov_b32_e32 v33, v26
	s_mov_b32 s3, 0xbf7d64f0
	s_mov_b32 s23, 0x3f575c64
	;; [unrolled: 1-line block ×6, first 2 shown]
	v_pk_mul_f32 v[58:59], v[48:49], s[26:27] op_sel:[1,0]
	s_mov_b32 s9, 0xbf0a6770
	v_pk_add_f32 v[30:31], v[24:25], v[18:19] neg_lo:[0,1] neg_hi:[0,1]
	s_mov_b32 s0, 0x3ed4b147
	v_pk_add_f32 v[28:29], v[32:33], v[22:23]
	s_mov_b32 s30, s23
	s_mov_b32 s31, s6
	v_pk_mul_f32 v[50:51], v[0:1], s[22:23] op_sel_hi:[0,1]
	s_mov_b32 s40, s8
	s_mov_b32 s41, s14
	v_pk_fma_f32 v[62:63], v[42:43], s[38:39], v[58:59] op_sel:[1,0,0]
	s_mov_b32 s1, 0xbf68dda4
	v_pk_add_f32 v[34:35], v[32:33], v[22:23] neg_lo:[0,1] neg_hi:[0,1]
	v_pk_add_f32 v[32:33], v[20:21], v[8:9]
	s_mov_b32 s28, s12
	s_mov_b32 s29, s0
	s_mov_b32 s19, 0x3f68dda4
	v_pk_mul_f32 v[52:53], v[28:29], s[30:31] op_sel_hi:[0,1]
	s_mov_b32 s44, s9
	s_mov_b32 s45, s7
	v_pk_fma_f32 v[60:61], v[30:31], s[40:41], v[50:51] op_sel:[1,0,0]
	v_pk_add_f32 v[62:63], v[62:63], v[6:7] op_sel_hi:[1,0]
	v_pk_add_f32 v[38:39], v[20:21], v[8:9] neg_lo:[0,1] neg_hi:[0,1]
	v_pk_add_f32 v[36:37], v[16:17], v[14:15]
	s_mov_b32 s34, s0
	s_mov_b32 s35, s2
	v_pk_mul_f32 v[54:55], v[32:33], s[28:29] op_sel_hi:[0,1]
	s_mov_b32 s46, s13
	s_mov_b32 s47, s19
	v_pk_add_f32 v[60:61], v[60:61], v[62:63]
	v_pk_fma_f32 v[62:63], v[34:35], s[44:45], v[52:53] op_sel:[1,0,0]
	v_pk_add_f32 v[40:41], v[16:17], v[14:15] neg_lo:[0,1] neg_hi:[0,1]
	v_pk_mul_f32 v[56:57], v[36:37], s[34:35] op_sel_hi:[0,1]
	s_mov_b32 s42, s19
	s_mov_b32 s43, s3
	v_pk_add_f32 v[60:61], v[62:63], v[60:61]
	v_pk_fma_f32 v[62:63], v[38:39], s[46:47], v[54:55] op_sel:[1,0,0]
	v_add_u32_e32 v108, 0, v46
	v_pk_add_f32 v[60:61], v[62:63], v[60:61]
	v_pk_fma_f32 v[62:63], v[40:41], s[42:43], v[56:57] op_sel:[1,0,0]
	v_mad_u32_u24 v109, v45, 44, v108
	v_pk_add_f32 v[60:61], v[62:63], v[60:61]
	s_mov_b32 s36, s1
	s_mov_b32 s37, s3
	ds_write2_b32 v109, v61, v60 offset0:6 offset1:7
	v_pk_mul_f32 v[60:61], v[48:49], s[34:35] op_sel:[1,0]
	s_mov_b32 s21, 0x3e903f40
	s_mov_b32 s20, s7
	v_pk_fma_f32 v[62:63], v[42:43], s[36:37], v[60:61] op_sel:[1,0,0]
	v_pk_mul_f32 v[64:65], v[0:1], s[26:27] op_sel_hi:[0,1]
	v_pk_add_f32 v[62:63], v[62:63], v[6:7] op_sel_hi:[1,0]
	v_pk_fma_f32 v[66:67], v[30:31], s[20:21], v[64:65] op_sel:[1,0,0]
	s_mov_b32 s18, s21
	v_pk_add_f32 v[62:63], v[66:67], v[62:63]
	v_pk_mul_f32 v[66:67], v[28:29], s[28:29] op_sel_hi:[0,1]
	v_pk_fma_f32 v[68:69], v[34:35], s[18:19], v[66:67] op_sel:[1,0,0]
	s_mov_b32 s15, s7
	v_pk_add_f32 v[62:63], v[68:69], v[62:63]
	v_pk_mul_f32 v[68:69], v[32:33], s[22:23] op_sel_hi:[0,1]
	v_pk_fma_f32 v[70:71], v[38:39], s[8:9], v[68:69] op_sel:[1,0,0]
	v_mov_b32_e32 v74, v1
	v_pk_add_f32 v[62:63], v[70:71], v[62:63]
	v_pk_mul_f32 v[70:71], v[36:37], s[30:31] op_sel_hi:[0,1]
	v_pk_fma_f32 v[72:73], v[40:41], s[14:15], v[70:71] op_sel:[1,0,0]
	v_mov_b32_e32 v75, v30
	v_pk_add_f32 v[62:63], v[72:73], v[62:63]
	ds_write2_b32 v109, v63, v62 offset0:8 offset1:9
	v_mov_b32_e32 v62, v0
	v_mov_b32_e32 v63, v31
	v_pk_mul_f32 v[72:73], v[62:63], s[0:1]
	v_mov_b32_e32 v103, 0x3f575c64
	v_mov_b32_e32 v102, v20
	v_mul_f32_e32 v105, 0xbf0a6770, v43
	v_mov_b32_e32 v104, v16
	v_mov_b32_e32 v47, v72
	v_pk_mul_f32 v[76:77], v[74:75], s[0:1]
	v_mov_b32_e32 v78, v28
	v_mov_b32_e32 v79, v35
	v_pk_add_f32 v[106:107], v[20:21], v[48:49]
	v_pk_fma_f32 v[104:105], v[102:103], v[48:49], v[104:105] neg_lo:[0,0,1] neg_hi:[0,0,1]
	v_pk_mul_f32 v[48:49], v[102:103], v[48:49]
	v_pk_fma_f32 v[62:63], v[62:63], s[0:1], v[46:47] neg_lo:[1,0,0] neg_hi:[1,0,0]
	v_mov_b32_e32 v47, v76
	v_pk_mul_f32 v[80:81], v[78:79], s[2:3]
	v_mov_b32_e32 v82, v29
	v_mov_b32_e32 v83, v34
	v_pk_fma_f32 v[60:61], v[42:43], s[36:37], v[60:61] op_sel:[1,0,0] neg_lo:[1,0,0] neg_hi:[1,0,0]
	v_fmac_f32_e32 v49, 0xbf0a6770, v43
	v_pk_fma_f32 v[42:43], v[42:43], s[38:39], v[58:59] op_sel:[1,0,0] neg_lo:[1,0,0] neg_hi:[1,0,0]
	v_pk_fma_f32 v[74:75], v[74:75], s[0:1], v[46:47]
	v_mov_b32_e32 v47, v80
	v_pk_mul_f32 v[84:85], v[82:83], s[2:3]
	v_mov_b32_e32 v86, v32
	v_mov_b32_e32 v87, v39
	;; [unrolled: 1-line block ×3, first 2 shown]
	v_pk_fma_f32 v[50:51], v[30:31], s[40:41], v[50:51] op_sel:[1,0,0] neg_lo:[1,0,0] neg_hi:[1,0,0]
	v_pk_add_f32 v[42:43], v[42:43], v[6:7] op_sel_hi:[1,0]
	v_add_f32_e32 v8, v27, v7
	v_pk_fma_f32 v[78:79], v[78:79], s[2:3], v[46:47] neg_lo:[1,0,0] neg_hi:[1,0,0]
	v_mov_b32_e32 v47, v84
	v_pk_mul_f32 v[88:89], v[86:87], s[6:7]
	v_mov_b32_e32 v90, v33
	v_mov_b32_e32 v91, v38
	v_pk_add_f32 v[106:107], v[106:107], v[16:17]
	v_pk_add_f32 v[42:43], v[50:51], v[42:43]
	v_pk_fma_f32 v[50:51], v[34:35], s[44:45], v[52:53] op_sel:[1,0,0] neg_lo:[1,0,0] neg_hi:[1,0,0]
	v_add_f32_e32 v24, v25, v8
	v_add_f32_e32 v8, v73, v72
	;; [unrolled: 1-line block ×3, first 2 shown]
	v_pk_fma_f32 v[82:83], v[82:83], s[2:3], v[46:47]
	v_mov_b32_e32 v47, v88
	v_pk_mul_f32 v[92:93], v[90:91], s[6:7]
	v_mov_b32_e32 v94, v36
	v_mov_b32_e32 v95, v41
	;; [unrolled: 1-line block ×5, first 2 shown]
	v_pk_add_f32 v[42:43], v[50:51], v[42:43]
	v_pk_fma_f32 v[50:51], v[38:39], s[46:47], v[54:55] op_sel:[1,0,0] neg_lo:[1,0,0] neg_hi:[1,0,0]
	v_add_f32_e32 v10, v81, v80
	v_add_f32_e32 v8, v8, v20
	v_pk_fma_f32 v[86:87], v[86:87], s[6:7], v[46:47] neg_lo:[1,0,0] neg_hi:[1,0,0]
	v_mov_b32_e32 v47, v92
	v_pk_mul_f32 v[96:97], v[94:95], s[12:13]
	v_pk_add_f32 v[104:105], v[104:105], v[106:107]
	v_pk_add_f32 v[42:43], v[50:51], v[42:43]
	v_pk_fma_f32 v[50:51], v[40:41], s[42:43], v[56:57] op_sel:[1,0,0] neg_lo:[1,0,0] neg_hi:[1,0,0]
	v_add_f32_e32 v14, v89, v88
	v_add_f32_e32 v8, v10, v8
	v_mov_b32_e32 v25, v13
	v_pk_fma_f32 v[90:91], v[90:91], s[6:7], v[46:47]
	v_mov_b32_e32 v47, v96
	v_pk_add_f32 v[62:63], v[62:63], v[104:105]
	v_mov_b32_e32 v78, v22
	v_pk_add_f32 v[42:43], v[50:51], v[42:43]
	v_add_f32_e32 v16, v97, v96
	v_add_f32_e32 v10, v14, v8
	v_mov_b32_e32 v8, v11
	v_pk_add_f32 v[24:25], v[26:27], v[24:25]
	v_mov_b32_e32 v102, v21
	v_pk_fma_f32 v[94:95], v[94:95], s[12:13], v[46:47] neg_lo:[1,0,0] neg_hi:[1,0,0]
	v_pk_add_f32 v[62:63], v[78:79], v[62:63]
	v_mov_b32_e32 v86, v18
	v_pk_add_f32 v[48:49], v[8:9], v[12:13] op_sel_hi:[0,1] neg_lo:[0,1] neg_hi:[0,1]
	ds_write2_b32 v109, v42, v43 offset0:4 offset1:5
	v_add_f32_e32 v8, v16, v10
	v_mov_b32_e32 v42, v17
	v_pk_add_f32 v[16:17], v[102:103], v[24:25]
	v_pk_mul_f32 v[20:21], v[102:103], v[24:25]
	v_pk_add_f32 v[62:63], v[86:87], v[62:63]
	v_mov_b32_e32 v94, v12
	v_mul_f32_e32 v43, 0xbf0a6770, v48
	v_mov_b32_e32 v17, v21
	v_mov_b32_e32 v98, v37
	;; [unrolled: 1-line block ×3, first 2 shown]
	v_pk_add_f32 v[62:63], v[94:95], v[62:63]
	v_pk_add_f32 v[16:17], v[42:43], v[16:17]
	v_mov_b32_e32 v14, v15
	v_mov_b32_e32 v15, v7
	v_pk_mul_f32 v[100:101], v[98:99], s[12:13]
	ds_write2_b32 v109, v62, v63 offset1:1
	v_pk_fma_f32 v[62:63], v[30:31], s[20:21], v[64:65] op_sel:[1,0,0] neg_lo:[1,0,0] neg_hi:[1,0,0]
	v_pk_add_f32 v[60:61], v[60:61], v[6:7] op_sel_hi:[1,0]
	v_pk_add_f32 v[14:15], v[14:15], v[16:17]
	v_mov_b32_e32 v74, v9
	v_mov_b32_e32 v47, v100
	v_pk_add_f32 v[60:61], v[62:63], v[60:61]
	v_pk_fma_f32 v[62:63], v[34:35], s[18:19], v[66:67] op_sel:[1,0,0] neg_lo:[1,0,0] neg_hi:[1,0,0]
	v_pk_add_f32 v[16:17], v[74:75], v[14:15]
	v_mov_b32_e32 v82, v23
	v_pk_fma_f32 v[98:99], v[98:99], s[12:13], v[46:47]
	v_pk_add_f32 v[60:61], v[62:63], v[60:61]
	v_pk_fma_f32 v[62:63], v[38:39], s[8:9], v[68:69] op_sel:[1,0,0] neg_lo:[1,0,0] neg_hi:[1,0,0]
	s_movk_i32 s33, 0xffd8
	v_pk_add_f32 v[16:17], v[82:83], v[16:17]
	v_mov_b32_e32 v90, v19
	v_pk_add_f32 v[60:61], v[62:63], v[60:61]
	v_pk_fma_f32 v[62:63], v[40:41], s[14:15], v[70:71] op_sel:[1,0,0] neg_lo:[1,0,0] neg_hi:[1,0,0]
	v_mad_i32_i24 v10, v45, s33, v109
	v_fmac_f32_e32 v21, 0x3f0a6770, v48
	v_pk_add_f32 v[16:17], v[90:91], v[16:17]
	v_mov_b32_e32 v98, v13
	v_pk_add_f32 v[60:61], v[62:63], v[60:61]
	v_sub_f32_e32 v18, v76, v77
	ds_write_b32 v109, v8 offset:40
	v_lshl_add_u32 v8, v45, 2, v108
	v_add_u32_e32 v11, 0x400, v10
	v_add_u32_e32 v12, 0x800, v10
	;; [unrolled: 1-line block ×4, first 2 shown]
	v_add_f32_e32 v15, v21, v7
	v_pk_add_f32 v[16:17], v[98:99], v[16:17]
	ds_write2_b32 v109, v60, v61 offset0:2 offset1:3
	v_sub_f32_e32 v22, v84, v85
	s_load_dwordx2 s[24:25], s[24:25], 0x0
	s_waitcnt lgkmcnt(0)
	s_barrier
	ds_read_b32 v64, v8
	ds_read2_b32 v[50:51], v10 offset0:121 offset1:242
	ds_read2_b32 v[42:43], v11 offset0:107 offset1:228
	;; [unrolled: 1-line block ×4, first 2 shown]
	v_add_f32_e32 v15, v18, v15
	ds_read2_b32 v[56:57], v14 offset0:65 offset1:186
	s_waitcnt lgkmcnt(0)
	s_barrier
	ds_write2_b32 v109, v16, v17 offset1:1
	v_pk_mul_f32 v[16:17], v[48:49], s[36:37] op_sel_hi:[0,1]
	v_sub_f32_e32 v47, v92, v93
	v_add_f32_e32 v15, v22, v15
	v_pk_mul_f32 v[18:19], v[30:31], s[20:21] op_sel_hi:[0,1]
	v_pk_fma_f32 v[62:63], v[24:25], s[34:35], v[16:17] op_sel:[1,0,0]
	v_sub_f32_e32 v58, v100, v101
	v_add_f32_e32 v15, v47, v15
	v_pk_fma_f32 v[20:21], v[0:1], s[26:27], v[18:19] op_sel:[1,0,0]
	v_pk_mul_f32 v[22:23], v[34:35], s[18:19] op_sel_hi:[0,1]
	v_pk_add_f32 v[62:63], v[62:63], v[6:7] op_sel:[0,1]
	v_add_f32_e32 v15, v58, v15
	v_pk_fma_f32 v[26:27], v[28:29], s[28:29], v[22:23] op_sel:[1,0,0]
	v_pk_mul_f32 v[58:59], v[38:39], s[8:9] op_sel_hi:[0,1]
	v_pk_add_f32 v[20:21], v[20:21], v[62:63]
	v_pk_fma_f32 v[60:61], v[32:33], s[22:23], v[58:59] op_sel:[1,0,0]
	v_pk_mul_f32 v[62:63], v[40:41], s[14:15] op_sel_hi:[0,1]
	v_pk_add_f32 v[20:21], v[26:27], v[20:21]
	v_pk_fma_f32 v[26:27], v[36:37], s[30:31], v[62:63] op_sel:[1,0,0]
	v_pk_add_f32 v[20:21], v[60:61], v[20:21]
	v_pk_mul_f32 v[34:35], v[34:35], s[44:45] op_sel_hi:[0,1]
	v_pk_add_f32 v[20:21], v[26:27], v[20:21]
	ds_write2_b32 v109, v20, v21 offset0:2 offset1:3
	v_pk_mul_f32 v[20:21], v[48:49], s[38:39] op_sel_hi:[0,1]
	v_pk_mul_f32 v[26:27], v[30:31], s[40:41] op_sel_hi:[0,1]
	v_pk_fma_f32 v[60:61], v[24:25], s[26:27], v[20:21] op_sel:[1,0,0]
	v_pk_fma_f32 v[30:31], v[0:1], s[22:23], v[26:27] op_sel:[1,0,0]
	v_pk_add_f32 v[60:61], v[60:61], v[6:7] op_sel:[0,1]
	v_pk_fma_f32 v[48:49], v[28:29], s[30:31], v[34:35] op_sel:[1,0,0]
	v_pk_mul_f32 v[38:39], v[38:39], s[46:47] op_sel_hi:[0,1]
	v_pk_add_f32 v[30:31], v[30:31], v[60:61]
	v_pk_fma_f32 v[60:61], v[32:33], s[28:29], v[38:39] op_sel:[1,0,0]
	v_pk_mul_f32 v[40:41], v[40:41], s[42:43] op_sel_hi:[0,1]
	v_pk_add_f32 v[30:31], v[48:49], v[30:31]
	v_pk_fma_f32 v[48:49], v[36:37], s[34:35], v[40:41] op_sel:[1,0,0]
	v_pk_add_f32 v[30:31], v[60:61], v[30:31]
	v_pk_fma_f32 v[20:21], v[24:25], s[26:27], v[20:21] op_sel:[1,0,0] neg_lo:[0,0,1] neg_hi:[0,0,1]
	v_pk_add_f32 v[30:31], v[48:49], v[30:31]
	v_pk_fma_f32 v[26:27], v[0:1], s[22:23], v[26:27] op_sel:[1,0,0] neg_lo:[0,0,1] neg_hi:[0,0,1]
	v_pk_add_f32 v[20:21], v[20:21], v[6:7] op_sel:[0,1]
	ds_write2_b32 v109, v30, v31 offset0:4 offset1:5
	v_pk_fma_f32 v[30:31], v[28:29], s[30:31], v[34:35] op_sel:[1,0,0] neg_lo:[0,0,1] neg_hi:[0,0,1]
	v_pk_add_f32 v[20:21], v[26:27], v[20:21]
	v_pk_fma_f32 v[34:35], v[32:33], s[28:29], v[38:39] op_sel:[1,0,0] neg_lo:[0,0,1] neg_hi:[0,0,1]
	v_pk_add_f32 v[20:21], v[30:31], v[20:21]
	v_pk_fma_f32 v[16:17], v[24:25], s[34:35], v[16:17] op_sel:[1,0,0] neg_lo:[0,0,1] neg_hi:[0,0,1]
	v_pk_fma_f32 v[38:39], v[36:37], s[34:35], v[40:41] op_sel:[1,0,0] neg_lo:[0,0,1] neg_hi:[0,0,1]
	v_pk_add_f32 v[20:21], v[34:35], v[20:21]
	v_pk_fma_f32 v[0:1], v[0:1], s[26:27], v[18:19] op_sel:[1,0,0] neg_lo:[0,0,1] neg_hi:[0,0,1]
	v_pk_add_f32 v[6:7], v[16:17], v[6:7] op_sel:[0,1]
	v_pk_add_f32 v[20:21], v[38:39], v[20:21]
	v_pk_fma_f32 v[18:19], v[28:29], s[28:29], v[22:23] op_sel:[1,0,0] neg_lo:[0,0,1] neg_hi:[0,0,1]
	v_pk_add_f32 v[0:1], v[0:1], v[6:7]
	ds_write2_b32 v109, v21, v20 offset0:6 offset1:7
	v_pk_fma_f32 v[20:21], v[32:33], s[22:23], v[58:59] op_sel:[1,0,0] neg_lo:[0,0,1] neg_hi:[0,0,1]
	v_pk_add_f32 v[0:1], v[18:19], v[0:1]
	v_pk_fma_f32 v[22:23], v[36:37], s[30:31], v[62:63] op_sel:[1,0,0] neg_lo:[0,0,1] neg_hi:[0,0,1]
	v_pk_add_f32 v[0:1], v[20:21], v[0:1]
	s_movk_i32 s15, 0x75
	v_pk_add_f32 v[0:1], v[22:23], v[0:1]
	ds_write2_b32 v109, v1, v0 offset0:8 offset1:9
	ds_write_b32 v109, v15 offset:40
	v_mul_lo_u16_sdwa v0, v45, s15 dst_sel:DWORD dst_unused:UNUSED_PAD src0_sel:BYTE_0 src1_sel:DWORD
	v_sub_u16_sdwa v1, v45, v0 dst_sel:DWORD dst_unused:UNUSED_PAD src0_sel:DWORD src1_sel:BYTE_1
	v_lshrrev_b16_e32 v1, 1, v1
	v_and_b32_e32 v1, 0x7f, v1
	v_add_u16_sdwa v0, v1, v0 dst_sel:DWORD dst_unused:UNUSED_PAD src0_sel:DWORD src1_sel:BYTE_1
	v_lshrrev_b16_e32 v13, 3, v0
	v_mul_lo_u16_e32 v0, 11, v13
	v_sub_u16_e32 v15, v45, v0
	v_mov_b32_e32 v0, 10
	v_mul_u32_u24_sdwa v0, v15, v0 dst_sel:DWORD dst_unused:UNUSED_PAD src0_sel:BYTE_0 src1_sel:DWORD
	v_lshlrev_b32_e32 v0, 3, v0
	s_waitcnt lgkmcnt(0)
	s_barrier
	global_load_dwordx4 v[16:19], v0, s[4:5]
	global_load_dwordx4 v[20:23], v0, s[4:5] offset:16
	global_load_dwordx4 v[24:27], v0, s[4:5] offset:32
	;; [unrolled: 1-line block ×4, first 2 shown]
	ds_read_b32 v47, v8
	ds_read2_b32 v[0:1], v10 offset0:121 offset1:242
	ds_read2_b32 v[6:7], v11 offset0:107 offset1:228
	;; [unrolled: 1-line block ×5, first 2 shown]
	s_movk_i32 s15, 0x1e4
	s_waitcnt lgkmcnt(0)
	s_barrier
	s_waitcnt vmcnt(4)
	v_mul_f32_e32 v48, v0, v17
	v_mul_f32_e32 v17, v50, v17
	v_fma_f32 v48, v50, v16, -v48
	v_fmac_f32_e32 v17, v0, v16
	v_mul_f32_e32 v0, v1, v19
	v_mul_f32_e32 v16, v51, v19
	v_fma_f32 v0, v51, v18, -v0
	v_fmac_f32_e32 v16, v1, v18
	s_waitcnt vmcnt(3)
	v_mul_f32_e32 v1, v6, v21
	v_mul_f32_e32 v18, v42, v21
	;; [unrolled: 1-line block ×3, first 2 shown]
	v_fma_f32 v1, v42, v20, -v1
	v_fmac_f32_e32 v18, v6, v20
	v_mul_f32_e32 v6, v7, v23
	v_fmac_f32_e32 v19, v7, v22
	s_waitcnt vmcnt(2)
	v_mul_f32_e32 v7, v36, v25
	v_mul_f32_e32 v20, v52, v25
	v_fma_f32 v7, v52, v24, -v7
	v_fmac_f32_e32 v20, v36, v24
	s_waitcnt vmcnt(1)
	v_mul_f32_e32 v23, v38, v29
	v_mul_f32_e32 v24, v54, v29
	v_fma_f32 v6, v43, v22, -v6
	v_mul_f32_e32 v21, v37, v27
	v_mul_f32_e32 v22, v53, v27
	v_fma_f32 v23, v54, v28, -v23
	v_fmac_f32_e32 v24, v38, v28
	s_waitcnt vmcnt(0)
	v_mul_f32_e32 v27, v40, v33
	v_mul_f32_e32 v28, v56, v33
	v_fma_f32 v21, v53, v26, -v21
	v_fmac_f32_e32 v22, v37, v26
	v_mul_f32_e32 v25, v39, v31
	v_mul_f32_e32 v26, v55, v31
	v_fma_f32 v27, v56, v32, -v27
	v_fmac_f32_e32 v28, v40, v32
	v_add_f32_e32 v31, v64, v48
	v_add_f32_e32 v32, v47, v17
	;; [unrolled: 1-line block ×12, first 2 shown]
	v_fma_f32 v25, v55, v30, -v25
	v_fmac_f32_e32 v26, v39, v30
	v_add_f32_e32 v31, v31, v23
	v_add_f32_e32 v32, v32, v24
	v_mul_f32_e32 v29, v41, v35
	v_mul_f32_e32 v30, v57, v35
	v_add_f32_e32 v31, v31, v25
	v_add_f32_e32 v32, v32, v26
	v_fma_f32 v29, v57, v34, -v29
	v_fmac_f32_e32 v30, v41, v34
	v_add_f32_e32 v31, v31, v27
	v_add_f32_e32 v32, v32, v28
	;; [unrolled: 1-line block ×5, first 2 shown]
	v_sub_f32_e32 v29, v48, v29
	v_add_f32_e32 v33, v17, v30
	v_sub_f32_e32 v17, v17, v30
	v_mul_f32_e32 v36, 0xbf0a6770, v29
	v_mul_f32_e32 v40, 0xbf68dda4, v29
	;; [unrolled: 1-line block ×6, first 2 shown]
	v_fmamk_f32 v37, v33, 0x3f575c64, v36
	v_fma_f32 v36, v33, s23, -v36
	v_mul_f32_e32 v38, 0xbf68dda4, v17
	v_fmamk_f32 v41, v33, 0x3ed4b147, v40
	v_fma_f32 v40, v33, s0, -v40
	v_mul_f32_e32 v42, 0xbf7d64f0, v17
	v_fmamk_f32 v49, v33, 0xbe11bafb, v48
	v_fma_f32 v48, v33, s2, -v48
	v_mul_f32_e32 v50, 0xbf4178ce, v17
	v_fmamk_f32 v53, v33, 0xbf27a4f4, v52
	v_fma_f32 v52, v33, s6, -v52
	v_mul_f32_e32 v17, 0xbe903f40, v17
	v_fmamk_f32 v55, v33, 0xbf75a155, v29
	v_fma_f32 v29, v33, s12, -v29
	v_add_f32_e32 v33, v16, v28
	v_sub_f32_e32 v16, v16, v28
	v_fma_f32 v35, v32, s23, -v30
	v_fmac_f32_e32 v30, 0x3f575c64, v32
	v_fma_f32 v39, v32, s0, -v38
	v_fmac_f32_e32 v38, 0x3ed4b147, v32
	;; [unrolled: 2-line block ×5, first 2 shown]
	v_add_f32_e32 v32, v0, v27
	v_sub_f32_e32 v0, v0, v27
	v_mul_f32_e32 v27, 0xbf68dda4, v16
	v_add_f32_e32 v35, v64, v35
	v_fma_f32 v28, v32, s0, -v27
	v_add_f32_e32 v30, v64, v30
	v_add_f32_e32 v28, v28, v35
	v_mul_f32_e32 v35, 0xbf68dda4, v0
	v_fmac_f32_e32 v27, 0x3ed4b147, v32
	v_add_f32_e32 v37, v47, v37
	v_add_f32_e32 v36, v47, v36
	v_add_f32_e32 v41, v47, v41
	v_add_f32_e32 v40, v47, v40
	v_add_f32_e32 v49, v47, v49
	v_add_f32_e32 v48, v47, v48
	v_add_f32_e32 v53, v47, v53
	v_add_f32_e32 v52, v47, v52
	v_add_f32_e32 v55, v47, v55
	v_add_f32_e32 v29, v47, v29
	v_fmamk_f32 v47, v33, 0x3ed4b147, v35
	v_add_f32_e32 v27, v27, v30
	v_fma_f32 v30, v33, s0, -v35
	v_mul_f32_e32 v35, 0xbf4178ce, v16
	v_add_f32_e32 v39, v64, v39
	v_add_f32_e32 v30, v30, v36
	v_fma_f32 v36, v32, s6, -v35
	v_add_f32_e32 v38, v64, v38
	v_add_f32_e32 v36, v36, v39
	v_mul_f32_e32 v39, 0xbf4178ce, v0
	v_fmac_f32_e32 v35, 0xbf27a4f4, v32
	v_add_f32_e32 v37, v47, v37
	v_fmamk_f32 v47, v33, 0xbf27a4f4, v39
	v_add_f32_e32 v35, v35, v38
	v_fma_f32 v38, v33, s6, -v39
	v_mul_f32_e32 v39, 0x3e903f40, v16
	v_add_f32_e32 v43, v64, v43
	v_add_f32_e32 v38, v38, v40
	v_fma_f32 v40, v32, s12, -v39
	v_add_f32_e32 v42, v64, v42
	v_add_f32_e32 v40, v40, v43
	v_mul_f32_e32 v43, 0x3e903f40, v0
	v_fmac_f32_e32 v39, 0xbf75a155, v32
	v_add_f32_e32 v41, v47, v41
	v_fmamk_f32 v47, v33, 0xbf75a155, v43
	v_add_f32_e32 v39, v39, v42
	v_fma_f32 v42, v33, s12, -v43
	v_mul_f32_e32 v43, 0x3f7d64f0, v16
	v_add_f32_e32 v51, v64, v51
	v_add_f32_e32 v47, v47, v49
	;; [unrolled: 1-line block ×3, first 2 shown]
	v_fma_f32 v48, v32, s2, -v43
	v_mul_f32_e32 v49, 0x3f7d64f0, v0
	v_add_f32_e32 v48, v48, v51
	v_fmamk_f32 v51, v33, 0xbe11bafb, v49
	v_fma_f32 v49, v33, s2, -v49
	v_mul_f32_e32 v0, 0x3f0a6770, v0
	v_add_f32_e32 v50, v64, v50
	v_fmac_f32_e32 v43, 0xbe11bafb, v32
	v_add_f32_e32 v49, v49, v52
	v_mul_f32_e32 v16, 0x3f0a6770, v16
	v_fmamk_f32 v52, v33, 0x3f575c64, v0
	v_fma_f32 v0, v33, s23, -v0
	v_add_f32_e32 v17, v64, v17
	v_add_f32_e32 v43, v43, v50
	v_fma_f32 v50, v32, s23, -v16
	v_fmac_f32_e32 v16, 0x3f575c64, v32
	v_add_f32_e32 v0, v0, v29
	v_add_f32_e32 v29, v18, v26
	v_sub_f32_e32 v18, v18, v26
	v_add_f32_e32 v16, v16, v17
	v_add_f32_e32 v17, v1, v25
	v_sub_f32_e32 v1, v1, v25
	v_mul_f32_e32 v25, 0xbf7d64f0, v18
	v_fma_f32 v26, v17, s2, -v25
	v_add_f32_e32 v26, v26, v28
	v_mul_f32_e32 v28, 0xbf7d64f0, v1
	v_fmac_f32_e32 v25, 0xbe11bafb, v17
	v_fmamk_f32 v32, v29, 0xbe11bafb, v28
	v_add_f32_e32 v25, v25, v27
	v_fma_f32 v27, v29, s2, -v28
	v_mul_f32_e32 v28, 0x3e903f40, v18
	v_add_f32_e32 v27, v27, v30
	v_fma_f32 v30, v17, s12, -v28
	v_fmac_f32_e32 v28, 0xbf75a155, v17
	v_mul_f32_e32 v33, 0x3e903f40, v1
	v_add_f32_e32 v28, v28, v35
	v_mul_f32_e32 v35, 0x3f68dda4, v18
	v_add_f32_e32 v32, v32, v37
	v_add_f32_e32 v30, v30, v36
	v_fmamk_f32 v36, v29, 0xbf75a155, v33
	v_fma_f32 v33, v29, s12, -v33
	v_fma_f32 v37, v17, s0, -v35
	v_fmac_f32_e32 v35, 0x3ed4b147, v17
	v_add_f32_e32 v33, v33, v38
	v_mul_f32_e32 v38, 0x3f68dda4, v1
	v_add_f32_e32 v35, v35, v39
	v_mul_f32_e32 v39, 0xbf0a6770, v18
	v_add_f32_e32 v36, v36, v41
	v_add_f32_e32 v37, v37, v40
	v_fmamk_f32 v40, v29, 0x3ed4b147, v38
	v_fma_f32 v38, v29, s0, -v38
	v_fma_f32 v41, v17, s23, -v39
	v_fmac_f32_e32 v39, 0x3f575c64, v17
	v_mul_f32_e32 v18, 0xbf4178ce, v18
	v_add_f32_e32 v38, v38, v42
	v_mul_f32_e32 v42, 0xbf0a6770, v1
	v_add_f32_e32 v39, v39, v43
	v_fma_f32 v43, v17, s6, -v18
	v_mul_f32_e32 v1, 0xbf4178ce, v1
	v_fmac_f32_e32 v18, 0xbf27a4f4, v17
	v_add_f32_e32 v41, v41, v48
	v_fmamk_f32 v48, v29, 0xbf27a4f4, v1
	v_add_f32_e32 v16, v18, v16
	v_fma_f32 v1, v29, s6, -v1
	v_sub_f32_e32 v18, v19, v24
	v_add_f32_e32 v0, v1, v0
	v_add_f32_e32 v1, v6, v23
	;; [unrolled: 1-line block ×3, first 2 shown]
	v_sub_f32_e32 v6, v6, v23
	v_mul_f32_e32 v19, 0xbf4178ce, v18
	v_fma_f32 v23, v1, s6, -v19
	v_mul_f32_e32 v24, 0xbf4178ce, v6
	v_fmac_f32_e32 v19, 0xbf27a4f4, v1
	v_add_f32_e32 v23, v23, v26
	v_fmamk_f32 v26, v17, 0xbf27a4f4, v24
	v_add_f32_e32 v19, v19, v25
	v_fma_f32 v24, v17, s6, -v24
	v_mul_f32_e32 v25, 0x3f7d64f0, v18
	v_add_f32_e32 v40, v40, v47
	v_fmamk_f32 v47, v29, 0x3f575c64, v42
	v_fma_f32 v42, v29, s23, -v42
	v_add_f32_e32 v24, v24, v27
	v_fma_f32 v27, v1, s2, -v25
	v_mul_f32_e32 v29, 0x3f7d64f0, v6
	v_fmac_f32_e32 v25, 0xbe11bafb, v1
	v_add_f32_e32 v27, v27, v30
	v_fmamk_f32 v30, v17, 0xbe11bafb, v29
	v_add_f32_e32 v25, v25, v28
	v_fma_f32 v28, v17, s2, -v29
	v_mul_f32_e32 v29, 0xbf0a6770, v18
	v_add_f32_e32 v26, v26, v32
	v_add_f32_e32 v28, v28, v33
	v_fma_f32 v32, v1, s23, -v29
	v_mul_f32_e32 v33, 0xbf0a6770, v6
	v_fmac_f32_e32 v29, 0x3f575c64, v1
	v_add_f32_e32 v30, v30, v36
	v_fmamk_f32 v36, v17, 0x3f575c64, v33
	v_add_f32_e32 v29, v29, v35
	v_fma_f32 v33, v17, s23, -v33
	v_mul_f32_e32 v35, 0xbe903f40, v18
	v_add_f32_e32 v32, v32, v37
	v_add_f32_e32 v33, v33, v38
	v_fma_f32 v37, v1, s12, -v35
	v_mul_f32_e32 v38, 0xbe903f40, v6
	v_fmac_f32_e32 v35, 0xbf75a155, v1
	v_mul_f32_e32 v18, 0x3f68dda4, v18
	v_mul_f32_e32 v6, 0x3f68dda4, v6
	v_add_f32_e32 v36, v36, v40
	v_add_f32_e32 v37, v37, v41
	v_fmamk_f32 v40, v17, 0xbf75a155, v38
	v_add_f32_e32 v35, v35, v39
	v_fma_f32 v38, v17, s12, -v38
	v_fma_f32 v39, v1, s0, -v18
	v_fmamk_f32 v41, v17, 0x3ed4b147, v6
	v_fmac_f32_e32 v18, 0x3ed4b147, v1
	v_fma_f32 v6, v17, s0, -v6
	v_sub_f32_e32 v17, v20, v22
	v_add_f32_e32 v1, v18, v16
	v_add_f32_e32 v0, v6, v0
	v_add_f32_e32 v6, v7, v21
	v_sub_f32_e32 v7, v7, v21
	v_mul_f32_e32 v18, 0xbe903f40, v17
	v_add_f32_e32 v16, v20, v22
	v_fma_f32 v20, v6, s12, -v18
	v_mul_f32_e32 v21, 0xbe903f40, v7
	v_fmac_f32_e32 v18, 0xbf75a155, v6
	v_add_f32_e32 v18, v18, v19
	v_fma_f32 v19, v16, s12, -v21
	v_fmamk_f32 v22, v16, 0xbf75a155, v21
	v_add_f32_e32 v21, v19, v24
	v_mul_f32_e32 v19, 0x3f0a6770, v17
	v_add_f32_e32 v54, v64, v54
	v_add_f32_e32 v20, v20, v23
	v_fma_f32 v23, v6, s23, -v19
	v_mul_f32_e32 v24, 0x3f0a6770, v7
	v_fmac_f32_e32 v19, 0x3f575c64, v6
	v_add_f32_e32 v50, v50, v54
	v_add_f32_e32 v42, v42, v49
	;; [unrolled: 1-line block ×4, first 2 shown]
	v_fmamk_f32 v26, v16, 0x3f575c64, v24
	v_add_f32_e32 v19, v19, v25
	v_fma_f32 v24, v16, s23, -v24
	v_mul_f32_e32 v25, 0xbf4178ce, v17
	v_mul_f32_e32 v27, 0xbf4178ce, v7
	v_add_f32_e32 v51, v51, v53
	v_add_f32_e32 v43, v43, v50
	;; [unrolled: 1-line block ×5, first 2 shown]
	v_fma_f32 v26, v6, s6, -v25
	v_fmamk_f32 v28, v16, 0xbf27a4f4, v27
	v_fmac_f32_e32 v25, 0xbf27a4f4, v6
	v_fma_f32 v27, v16, s6, -v27
	v_add_f32_e32 v47, v47, v51
	v_add_f32_e32 v39, v39, v43
	;; [unrolled: 1-line block ×4, first 2 shown]
	v_mul_f32_e32 v27, 0x3f68dda4, v17
	v_mul_f32_e32 v29, 0x3f68dda4, v7
	v_add_f32_e32 v40, v40, v47
	v_add_f32_e32 v36, v28, v36
	v_fma_f32 v28, v6, s0, -v27
	v_fmamk_f32 v30, v16, 0x3ed4b147, v29
	v_fmac_f32_e32 v27, 0x3ed4b147, v6
	v_fma_f32 v29, v16, s0, -v29
	v_mul_f32_e32 v17, 0xbf7d64f0, v17
	v_mul_f32_e32 v7, 0xbf7d64f0, v7
	v_add_f32_e32 v52, v52, v55
	v_add_f32_e32 v28, v28, v37
	;; [unrolled: 1-line block ×5, first 2 shown]
	v_fma_f32 v29, v6, s2, -v17
	v_fmamk_f32 v30, v16, 0xbe11bafb, v7
	v_fmac_f32_e32 v17, 0xbe11bafb, v6
	v_fma_f32 v6, v16, s2, -v7
	v_mov_b32_e32 v7, 2
	v_add_f32_e32 v48, v48, v52
	v_add_f32_e32 v6, v6, v0
	v_mad_u32_u24 v0, v13, s15, 0
	v_lshlrev_b32_sdwa v7, v7, v15 dst_sel:DWORD dst_unused:UNUSED_PAD src0_sel:DWORD src1_sel:BYTE_0
	v_add_f32_e32 v41, v41, v48
	v_add_f32_e32 v26, v26, v32
	;; [unrolled: 1-line block ×3, first 2 shown]
	v_add3_u32 v7, v0, v7, v46
	v_add_f32_e32 v38, v30, v41
	v_add_f32_e32 v1, v17, v1
	ds_write2_b32 v7, v31, v20 offset1:11
	ds_write2_b32 v7, v23, v26 offset0:22 offset1:33
	ds_write2_b32 v7, v28, v29 offset0:44 offset1:55
	;; [unrolled: 1-line block ×4, first 2 shown]
	ds_write_b32 v7, v18 offset:440
	s_waitcnt lgkmcnt(0)
	s_barrier
	ds_read_b32 v0, v8
	ds_read2_b32 v[28:29], v10 offset0:121 offset1:242
	ds_read2_b32 v[26:27], v11 offset0:107 offset1:228
	;; [unrolled: 1-line block ×5, first 2 shown]
	s_waitcnt lgkmcnt(0)
	s_barrier
	ds_write2_b32 v7, v34, v22 offset1:11
	ds_write2_b32 v7, v42, v36 offset0:22 offset1:33
	ds_write2_b32 v7, v37, v38 offset0:44 offset1:55
	;; [unrolled: 1-line block ×4, first 2 shown]
	ds_write_b32 v7, v21 offset:440
	s_waitcnt lgkmcnt(0)
	s_barrier
	s_and_saveexec_b64 s[26:27], vcc
	s_cbranch_execz .LBB0_15
; %bb.14:
	v_mul_lo_u32 v1, s25, v4
	v_mul_lo_u32 v6, s24, v5
	v_mad_u64_u32 v[4:5], s[24:25], s24, v4, 0
	v_add3_u32 v5, v5, v6, v1
	v_mul_u32_u24_e32 v1, 10, v45
	v_lshlrev_b32_e32 v22, 3, v1
	ds_read2_b32 v[34:35], v10 offset0:121 offset1:242
	ds_read2_b32 v[42:43], v14 offset0:65 offset1:186
	ds_read_b32 v1, v8
	ds_read2_b32 v[62:63], v11 offset0:107 offset1:228
	ds_read2_b32 v[64:65], v9 offset0:79 offset1:200
	;; [unrolled: 1-line block ×3, first 2 shown]
	global_load_dwordx4 v[38:41], v22, s[4:5] offset:944
	global_load_dwordx4 v[46:49], v22, s[4:5] offset:896
	;; [unrolled: 1-line block ×5, first 2 shown]
	v_lshl_add_u64 v[4:5], v[4:5], 3, s[10:11]
	v_lshl_add_u64 v[12:13], v[2:3], 3, v[4:5]
	v_add_u32_e32 v5, 0x79, v44
	v_mad_u64_u32 v[2:3], s[10:11], s16, v5, 0
	v_mov_b32_e32 v4, v3
	v_mad_u64_u32 v[4:5], s[10:11], s17, v5, v[4:5]
	v_mov_b32_e32 v3, v4
	v_add_u32_e32 v5, 0xf2, v44
	v_lshl_add_u64 v[68:69], v[2:3], 3, v[12:13]
	v_mad_u64_u32 v[2:3], s[10:11], s16, v5, 0
	v_mov_b32_e32 v4, v3
	v_mad_u64_u32 v[4:5], s[10:11], s17, v5, v[4:5]
	v_mov_b32_e32 v3, v4
	v_add_u32_e32 v5, 0x16b, v44
	v_lshl_add_u64 v[36:37], v[2:3], 3, v[12:13]
	v_mad_u64_u32 v[2:3], s[10:11], s16, v5, 0
	v_mov_b32_e32 v4, v3
	v_mad_u64_u32 v[4:5], s[10:11], s17, v5, v[4:5]
	v_mov_b32_e32 v3, v4
	v_add_u32_e32 v5, 0x1e4, v44
	v_lshl_add_u64 v[16:17], v[2:3], 3, v[12:13]
	v_mad_u64_u32 v[2:3], s[10:11], s16, v5, 0
	v_mov_b32_e32 v4, v3
	v_mad_u64_u32 v[6:7], s[24:25], s16, v44, 0
	v_mad_u64_u32 v[4:5], s[10:11], s17, v5, v[4:5]
	v_mov_b32_e32 v8, v7
	v_mov_b32_e32 v3, v4
	v_add_u32_e32 v5, 0x25d, v44
	v_mad_u64_u32 v[8:9], s[24:25], s17, v44, v[8:9]
	v_lshl_add_u64 v[14:15], v[2:3], 3, v[12:13]
	v_mad_u64_u32 v[2:3], s[10:11], s16, v5, 0
	v_mov_b32_e32 v7, v8
	v_mov_b32_e32 v4, v3
	v_lshl_add_u64 v[20:21], v[6:7], 3, v[12:13]
	v_mad_u64_u32 v[4:5], s[10:11], s17, v5, v[4:5]
	v_add_u32_e32 v7, 0x2d6, v44
	v_mov_b32_e32 v3, v4
	v_mad_u64_u32 v[4:5], s[10:11], s16, v7, 0
	v_mov_b32_e32 v6, v5
	v_mad_u64_u32 v[6:7], s[10:11], s17, v7, v[6:7]
	v_add_u32_e32 v9, 0x34f, v44
	v_mov_b32_e32 v5, v6
	v_mad_u64_u32 v[6:7], s[10:11], s16, v9, 0
	v_mov_b32_e32 v8, v7
	;; [unrolled: 5-line block ×5, first 2 shown]
	v_mad_u64_u32 v[24:25], s[4:5], s17, v25, v[24:25]
	v_mov_b32_e32 v23, v24
	v_lshl_add_u64 v[2:3], v[2:3], 3, v[12:13]
	v_lshl_add_u64 v[4:5], v[4:5], 3, v[12:13]
	;; [unrolled: 1-line block ×6, first 2 shown]
	s_waitcnt lgkmcnt(4)
	v_mov_b32_e32 v22, v43
	s_waitcnt vmcnt(4)
	v_pk_mul_f32 v[22:23], v[40:41], v[22:23] op_sel_hi:[1,0]
	v_mov_b32_e32 v24, v33
	v_mov_b32_e32 v44, v33
	v_pk_fma_f32 v[70:71], v[24:25], v[40:41], v[22:23] op_sel:[0,0,1] op_sel_hi:[1,1,0] neg_lo:[0,0,1] neg_hi:[0,0,1]
	v_pk_fma_f32 v[22:23], v[44:45], v[40:41], v[22:23] op_sel:[0,0,1] op_sel_hi:[0,1,0]
	v_mov_b32_e32 v71, v23
	s_waitcnt vmcnt(2)
	v_pk_mul_f32 v[22:23], v[50:51], v[34:35] op_sel_hi:[1,0]
	v_pk_mul_f32 v[42:43], v[38:39], v[42:43] op_sel_hi:[1,0]
	v_pk_fma_f32 v[40:41], v[28:29], v[50:51], v[22:23] op_sel:[0,0,1] op_sel_hi:[1,1,0] neg_lo:[0,0,1] neg_hi:[0,0,1]
	v_pk_fma_f32 v[22:23], v[28:29], v[50:51], v[22:23] op_sel:[0,0,1] op_sel_hi:[0,1,0]
	v_pk_fma_f32 v[44:45], v[32:33], v[38:39], v[42:43] op_sel:[0,0,1] op_sel_hi:[1,1,0] neg_lo:[0,0,1] neg_hi:[0,0,1]
	v_pk_fma_f32 v[32:33], v[32:33], v[38:39], v[42:43] op_sel:[0,0,1] op_sel_hi:[0,1,0]
	v_mov_b32_e32 v28, v35
	v_mov_b32_e32 v45, v33
	v_pk_mul_f32 v[32:33], v[52:53], v[28:29] op_sel_hi:[1,0]
	v_mov_b32_e32 v28, v29
	v_mov_b32_e32 v34, v29
	v_pk_fma_f32 v[38:39], v[28:29], v[52:53], v[32:33] op_sel:[0,0,1] op_sel_hi:[1,1,0] neg_lo:[0,0,1] neg_hi:[0,0,1]
	v_pk_fma_f32 v[28:29], v[34:35], v[52:53], v[32:33] op_sel:[0,0,1] op_sel_hi:[0,1,0]
	s_waitcnt lgkmcnt(1)
	v_mov_b32_e32 v34, v65
	s_waitcnt vmcnt(1)
	v_pk_mul_f32 v[34:35], v[56:57], v[34:35] op_sel_hi:[1,0]
	v_mov_b32_e32 v42, v31
	v_mov_b32_e32 v50, v31
	v_pk_fma_f32 v[42:43], v[42:43], v[56:57], v[34:35] op_sel:[0,0,1] op_sel_hi:[1,1,0] neg_lo:[0,0,1] neg_hi:[0,0,1]
	v_pk_fma_f32 v[34:35], v[50:51], v[56:57], v[34:35] op_sel:[0,0,1] op_sel_hi:[0,1,0]
	v_mov_b32_e32 v43, v35
	v_pk_mul_f32 v[34:35], v[46:47], v[62:63] op_sel_hi:[1,0]
	v_pk_mul_f32 v[52:53], v[54:55], v[64:65] op_sel_hi:[1,0]
	v_pk_fma_f32 v[50:51], v[26:27], v[46:47], v[34:35] op_sel:[0,0,1] op_sel_hi:[1,1,0] neg_lo:[0,0,1] neg_hi:[0,0,1]
	v_pk_fma_f32 v[34:35], v[26:27], v[46:47], v[34:35] op_sel:[0,0,1] op_sel_hi:[0,1,0]
	v_pk_fma_f32 v[56:57], v[30:31], v[54:55], v[52:53] op_sel:[0,0,1] op_sel_hi:[1,1,0] neg_lo:[0,0,1] neg_hi:[0,0,1]
	v_pk_fma_f32 v[30:31], v[30:31], v[54:55], v[52:53] op_sel:[0,0,1] op_sel_hi:[0,1,0]
	v_mov_b32_e32 v26, v63
	v_mov_b32_e32 v57, v31
	v_pk_mul_f32 v[30:31], v[48:49], v[26:27] op_sel_hi:[1,0]
	v_mov_b32_e32 v26, v27
	v_mov_b32_e32 v52, v27
	v_pk_fma_f32 v[26:27], v[26:27], v[48:49], v[30:31] op_sel:[0,0,1] op_sel_hi:[1,1,0] neg_lo:[0,0,1] neg_hi:[0,0,1]
	v_pk_fma_f32 v[30:31], v[52:53], v[48:49], v[30:31] op_sel:[0,0,1] op_sel_hi:[0,1,0]
	s_waitcnt lgkmcnt(0)
	v_mov_b32_e32 v52, v67
	v_mov_b32_e32 v41, v23
	s_waitcnt vmcnt(0)
	v_pk_mul_f32 v[52:53], v[60:61], v[52:53] op_sel_hi:[1,0]
	v_mov_b32_e32 v54, v19
	v_mov_b32_e32 v62, v19
	v_pk_add_f32 v[24:25], v[40:41], v[70:71] neg_lo:[0,1] neg_hi:[0,1]
	v_pk_add_f32 v[22:23], v[40:41], v[70:71]
	v_mov_b32_e32 v39, v29
	v_pk_fma_f32 v[54:55], v[54:55], v[60:61], v[52:53] op_sel:[0,0,1] op_sel_hi:[1,1,0] neg_lo:[0,0,1] neg_hi:[0,0,1]
	v_pk_fma_f32 v[52:53], v[62:63], v[60:61], v[52:53] op_sel:[0,0,1] op_sel_hi:[0,1,0]
	v_pk_add_f32 v[40:41], v[0:1], v[40:41]
	v_pk_add_f32 v[32:33], v[38:39], v[44:45] neg_lo:[0,1] neg_hi:[0,1]
	v_pk_add_f32 v[28:29], v[38:39], v[44:45]
	v_mov_b32_e32 v51, v35
	v_mov_b32_e32 v55, v53
	v_pk_mul_f32 v[52:53], v[58:59], v[66:67] op_sel_hi:[1,0]
	v_pk_add_f32 v[38:39], v[40:41], v[38:39]
	v_mov_b32_e32 v27, v31
	v_pk_fma_f32 v[60:61], v[18:19], v[58:59], v[52:53] op_sel:[0,0,1] op_sel_hi:[1,1,0] neg_lo:[0,0,1] neg_hi:[0,0,1]
	v_pk_fma_f32 v[18:19], v[18:19], v[58:59], v[52:53] op_sel:[0,0,1] op_sel_hi:[0,1,0]
	v_pk_add_f32 v[38:39], v[38:39], v[50:51]
	v_pk_add_f32 v[30:31], v[26:27], v[56:57] neg_lo:[0,1] neg_hi:[0,1]
	v_pk_add_f32 v[48:49], v[26:27], v[56:57]
	v_mov_b32_e32 v61, v19
	s_mov_b32 s20, s9
	v_pk_add_f32 v[26:27], v[38:39], v[26:27]
	s_mov_b32 s4, s23
	v_pk_mul_f32 v[58:59], v[24:25], s[20:21] op_sel:[1,0] op_sel_hi:[0,0]
	s_mov_b32 s22, s1
	v_pk_add_f32 v[26:27], v[26:27], v[60:61]
	v_pk_mul_f32 v[62:63], v[32:33], s[22:23] op_sel:[1,0] op_sel_hi:[0,0]
	v_pk_fma_f32 v[74:75], v[22:23], s[4:5], v[58:59] op_sel_hi:[1,0,1]
	v_pk_fma_f32 v[58:59], v[22:23], s[4:5], v[58:59] op_sel_hi:[1,0,1] neg_lo:[0,0,1] neg_hi:[0,0,1]
	v_pk_add_f32 v[26:27], v[26:27], v[54:55]
	v_pk_add_f32 v[46:47], v[50:51], v[42:43] neg_lo:[0,1] neg_hi:[0,1]
	s_mov_b32 s10, s3
	v_mov_b32_e32 v76, v74
	v_mov_b32_e32 v77, v59
	v_pk_fma_f32 v[78:79], v[28:29], s[0:1], v[62:63] op_sel_hi:[1,0,1]
	v_pk_fma_f32 v[62:63], v[28:29], s[0:1], v[62:63] op_sel_hi:[1,0,1] neg_lo:[0,0,1] neg_hi:[0,0,1]
	v_pk_add_f32 v[26:27], v[56:57], v[26:27]
	v_pk_add_f32 v[34:35], v[50:51], v[42:43]
	v_pk_mul_f32 v[64:65], v[46:47], s[10:11] op_sel:[1,0] op_sel_hi:[0,0]
	v_pk_add_f32 v[76:77], v[0:1], v[76:77]
	v_mov_b32_e32 v80, v78
	v_mov_b32_e32 v81, v63
	v_pk_add_f32 v[26:27], v[42:43], v[26:27]
	s_mov_b32 s16, s7
	v_pk_add_f32 v[76:77], v[76:77], v[80:81]
	v_pk_fma_f32 v[80:81], v[34:35], s[2:3], v[64:65] op_sel_hi:[1,0,1]
	v_pk_fma_f32 v[64:65], v[34:35], s[2:3], v[64:65] op_sel_hi:[1,0,1] neg_lo:[0,0,1] neg_hi:[0,0,1]
	v_pk_add_f32 v[26:27], v[44:45], v[26:27]
	v_pk_mul_f32 v[66:67], v[30:31], s[16:17] op_sel:[1,0] op_sel_hi:[0,0]
	v_mov_b32_e32 v82, v80
	v_mov_b32_e32 v83, v65
	v_pk_add_f32 v[26:27], v[70:71], v[26:27]
	v_mov_b32_e32 v59, v75
	v_pk_add_f32 v[18:19], v[60:61], v[54:55] neg_lo:[0,1] neg_hi:[0,1]
	s_mov_b32 s18, s13
	v_pk_add_f32 v[76:77], v[76:77], v[82:83]
	v_pk_fma_f32 v[82:83], v[48:49], s[6:7], v[66:67] op_sel_hi:[1,0,1]
	v_pk_fma_f32 v[66:67], v[48:49], s[6:7], v[66:67] op_sel_hi:[1,0,1] neg_lo:[0,0,1] neg_hi:[0,0,1]
	global_store_dwordx2 v[20:21], v[26:27], off
	v_pk_add_f32 v[20:21], v[0:1], v[58:59]
	v_mov_b32_e32 v63, v79
	v_pk_add_f32 v[52:53], v[60:61], v[54:55]
	v_pk_mul_f32 v[72:73], v[18:19], s[18:19] op_sel:[1,0] op_sel_hi:[0,0]
	v_mov_b32_e32 v84, v82
	v_mov_b32_e32 v85, v67
	v_pk_add_f32 v[20:21], v[20:21], v[62:63]
	v_mov_b32_e32 v65, v81
	v_pk_add_f32 v[76:77], v[76:77], v[84:85]
	v_pk_fma_f32 v[84:85], v[52:53], s[12:13], v[72:73] op_sel_hi:[1,0,1]
	v_pk_fma_f32 v[72:73], v[52:53], s[12:13], v[72:73] op_sel_hi:[1,0,1] neg_lo:[0,0,1] neg_hi:[0,0,1]
	v_pk_add_f32 v[20:21], v[20:21], v[64:65]
	v_mov_b32_e32 v67, v83
	v_mov_b32_e32 v87, v73
	v_pk_add_f32 v[20:21], v[20:21], v[66:67]
	v_mov_b32_e32 v73, v85
	v_pk_add_f32 v[20:21], v[20:21], v[72:73]
	global_store_dwordx2 v[68:69], v[20:21], off
	v_pk_mul_f32 v[20:21], v[24:25], s[22:23] op_sel:[1,0] op_sel_hi:[0,0]
	v_pk_mul_f32 v[26:27], v[32:33], s[16:17] op_sel:[1,0] op_sel_hi:[0,0]
	v_pk_fma_f32 v[44:45], v[22:23], s[0:1], v[20:21] op_sel_hi:[1,0,1]
	v_pk_fma_f32 v[20:21], v[22:23], s[0:1], v[20:21] op_sel_hi:[1,0,1] neg_lo:[0,0,1] neg_hi:[0,0,1]
	s_mov_b32 s22, s21
	v_mov_b32_e32 v50, v44
	v_mov_b32_e32 v51, v21
	v_pk_fma_f32 v[54:55], v[28:29], s[6:7], v[26:27] op_sel_hi:[1,0,1]
	v_pk_fma_f32 v[26:27], v[28:29], s[6:7], v[26:27] op_sel_hi:[1,0,1] neg_lo:[0,0,1] neg_hi:[0,0,1]
	v_pk_mul_f32 v[38:39], v[46:47], s[22:23] op_sel:[1,0] op_sel_hi:[0,0]
	v_pk_add_f32 v[50:51], v[0:1], v[50:51]
	v_mov_b32_e32 v56, v54
	v_mov_b32_e32 v57, v27
	v_pk_add_f32 v[50:51], v[50:51], v[56:57]
	v_pk_fma_f32 v[56:57], v[34:35], s[12:13], v[38:39] op_sel_hi:[1,0,1]
	v_pk_fma_f32 v[38:39], v[34:35], s[12:13], v[38:39] op_sel_hi:[1,0,1] neg_lo:[0,0,1] neg_hi:[0,0,1]
	v_pk_mul_f32 v[40:41], v[30:31], s[8:9] op_sel:[1,0] op_sel_hi:[0,0]
	v_mov_b32_e32 v58, v56
	v_mov_b32_e32 v59, v39
	v_mov_b32_e32 v21, v45
	v_pk_add_f32 v[50:51], v[50:51], v[58:59]
	v_pk_fma_f32 v[58:59], v[48:49], s[2:3], v[40:41] op_sel_hi:[1,0,1]
	v_pk_fma_f32 v[40:41], v[48:49], s[2:3], v[40:41] op_sel_hi:[1,0,1] neg_lo:[0,0,1] neg_hi:[0,0,1]
	v_pk_add_f32 v[20:21], v[0:1], v[20:21]
	v_mov_b32_e32 v27, v55
	v_pk_mul_f32 v[42:43], v[18:19], s[14:15] op_sel:[1,0] op_sel_hi:[0,0]
	v_mov_b32_e32 v60, v58
	v_mov_b32_e32 v61, v41
	v_pk_add_f32 v[20:21], v[20:21], v[26:27]
	v_mov_b32_e32 v39, v57
	v_pk_add_f32 v[50:51], v[50:51], v[60:61]
	v_pk_fma_f32 v[60:61], v[52:53], s[4:5], v[42:43] op_sel_hi:[1,0,1]
	v_pk_fma_f32 v[42:43], v[52:53], s[4:5], v[42:43] op_sel_hi:[1,0,1] neg_lo:[0,0,1] neg_hi:[0,0,1]
	v_pk_add_f32 v[20:21], v[20:21], v[38:39]
	v_mov_b32_e32 v41, v59
	v_mov_b32_e32 v63, v43
	v_pk_add_f32 v[20:21], v[20:21], v[40:41]
	v_mov_b32_e32 v43, v61
	v_pk_add_f32 v[20:21], v[20:21], v[42:43]
	global_store_dwordx2 v[36:37], v[20:21], off
	v_pk_mul_f32 v[20:21], v[24:25], s[10:11] op_sel:[1,0] op_sel_hi:[0,0]
	v_pk_mul_f32 v[26:27], v[32:33], s[22:23] op_sel:[1,0] op_sel_hi:[0,0]
	v_pk_fma_f32 v[42:43], v[22:23], s[2:3], v[20:21] op_sel_hi:[1,0,1]
	v_pk_fma_f32 v[20:21], v[22:23], s[2:3], v[20:21] op_sel_hi:[1,0,1] neg_lo:[0,0,1] neg_hi:[0,0,1]
	s_mov_b32 s22, s19
	v_mov_b32_e32 v44, v42
	v_mov_b32_e32 v45, v21
	v_pk_fma_f32 v[54:55], v[28:29], s[12:13], v[26:27] op_sel_hi:[1,0,1]
	v_pk_fma_f32 v[26:27], v[28:29], s[12:13], v[26:27] op_sel_hi:[1,0,1] neg_lo:[0,0,1] neg_hi:[0,0,1]
	v_pk_mul_f32 v[36:37], v[46:47], s[22:23] op_sel:[1,0] op_sel_hi:[0,0]
	v_pk_add_f32 v[44:45], v[0:1], v[44:45]
	v_mov_b32_e32 v56, v54
	v_mov_b32_e32 v57, v27
	v_pk_add_f32 v[44:45], v[44:45], v[56:57]
	v_pk_fma_f32 v[56:57], v[34:35], s[0:1], v[36:37] op_sel_hi:[1,0,1]
	v_pk_fma_f32 v[36:37], v[34:35], s[0:1], v[36:37] op_sel_hi:[1,0,1] neg_lo:[0,0,1] neg_hi:[0,0,1]
	v_pk_mul_f32 v[38:39], v[30:31], s[20:21] op_sel:[1,0] op_sel_hi:[0,0]
	v_mov_b32_e32 v58, v56
	v_mov_b32_e32 v59, v37
	;; [unrolled: 1-line block ×3, first 2 shown]
	v_pk_add_f32 v[44:45], v[44:45], v[58:59]
	v_pk_fma_f32 v[58:59], v[48:49], s[4:5], v[38:39] op_sel_hi:[1,0,1]
	v_pk_fma_f32 v[38:39], v[48:49], s[4:5], v[38:39] op_sel_hi:[1,0,1] neg_lo:[0,0,1] neg_hi:[0,0,1]
	v_pk_add_f32 v[20:21], v[0:1], v[20:21]
	v_mov_b32_e32 v27, v55
	v_mov_b32_e32 v62, v60
	v_pk_mul_f32 v[40:41], v[18:19], s[16:17] op_sel:[1,0] op_sel_hi:[0,0]
	v_mov_b32_e32 v60, v58
	v_mov_b32_e32 v61, v39
	v_pk_add_f32 v[20:21], v[20:21], v[26:27]
	v_mov_b32_e32 v37, v57
	v_pk_add_f32 v[44:45], v[44:45], v[60:61]
	v_pk_fma_f32 v[60:61], v[52:53], s[6:7], v[40:41] op_sel_hi:[1,0,1]
	v_pk_fma_f32 v[40:41], v[52:53], s[6:7], v[40:41] op_sel_hi:[1,0,1] neg_lo:[0,0,1] neg_hi:[0,0,1]
	v_pk_add_f32 v[20:21], v[20:21], v[36:37]
	v_mov_b32_e32 v39, v59
	v_pk_add_f32 v[50:51], v[50:51], v[62:63]
	v_mov_b32_e32 v63, v41
	;; [unrolled: 2-line block ×3, first 2 shown]
	v_pk_add_f32 v[20:21], v[20:21], v[40:41]
	global_store_dwordx2 v[16:17], v[20:21], off
	v_pk_mul_f32 v[16:17], v[24:25], s[16:17] op_sel:[1,0] op_sel_hi:[0,0]
	v_pk_mul_f32 v[20:21], v[32:33], s[8:9] op_sel:[1,0] op_sel_hi:[0,0]
	v_pk_fma_f32 v[40:41], v[22:23], s[6:7], v[16:17] op_sel_hi:[1,0,1]
	v_pk_fma_f32 v[16:17], v[22:23], s[6:7], v[16:17] op_sel_hi:[1,0,1] neg_lo:[0,0,1] neg_hi:[0,0,1]
	v_mov_b32_e32 v42, v40
	v_mov_b32_e32 v43, v17
	v_pk_fma_f32 v[54:55], v[28:29], s[2:3], v[20:21] op_sel_hi:[1,0,1]
	v_pk_fma_f32 v[20:21], v[28:29], s[2:3], v[20:21] op_sel_hi:[1,0,1] neg_lo:[0,0,1] neg_hi:[0,0,1]
	v_pk_mul_f32 v[26:27], v[46:47], s[20:21] op_sel:[1,0] op_sel_hi:[0,0]
	v_pk_add_f32 v[42:43], v[0:1], v[42:43]
	v_mov_b32_e32 v56, v54
	v_mov_b32_e32 v57, v21
	v_pk_add_f32 v[42:43], v[42:43], v[56:57]
	v_pk_fma_f32 v[56:57], v[34:35], s[4:5], v[26:27] op_sel_hi:[1,0,1]
	v_pk_fma_f32 v[26:27], v[34:35], s[4:5], v[26:27] op_sel_hi:[1,0,1] neg_lo:[0,0,1] neg_hi:[0,0,1]
	v_pk_mul_f32 v[36:37], v[30:31], s[18:19] op_sel:[1,0] op_sel_hi:[0,0]
	v_mov_b32_e32 v58, v56
	v_mov_b32_e32 v59, v27
	v_mov_b32_e32 v17, v41
	v_pk_add_f32 v[42:43], v[42:43], v[58:59]
	v_pk_fma_f32 v[58:59], v[48:49], s[12:13], v[36:37] op_sel_hi:[1,0,1]
	v_pk_fma_f32 v[36:37], v[48:49], s[12:13], v[36:37] op_sel_hi:[1,0,1] neg_lo:[0,0,1] neg_hi:[0,0,1]
	v_pk_add_f32 v[16:17], v[0:1], v[16:17]
	v_mov_b32_e32 v21, v55
	v_mov_b32_e32 v62, v60
	v_pk_mul_f32 v[38:39], v[18:19], s[22:23] op_sel:[1,0] op_sel_hi:[0,0]
	v_mov_b32_e32 v60, v58
	v_mov_b32_e32 v61, v37
	v_pk_add_f32 v[16:17], v[16:17], v[20:21]
	v_mov_b32_e32 v27, v57
	v_pk_add_f32 v[42:43], v[42:43], v[60:61]
	v_pk_fma_f32 v[60:61], v[52:53], s[0:1], v[38:39] op_sel_hi:[1,0,1]
	v_pk_fma_f32 v[38:39], v[52:53], s[0:1], v[38:39] op_sel_hi:[1,0,1] neg_lo:[0,0,1] neg_hi:[0,0,1]
	v_pk_add_f32 v[16:17], v[16:17], v[26:27]
	v_mov_b32_e32 v37, v59
	v_pk_add_f32 v[44:45], v[44:45], v[62:63]
	v_mov_b32_e32 v63, v39
	;; [unrolled: 2-line block ×3, first 2 shown]
	v_pk_add_f32 v[16:17], v[16:17], v[38:39]
	global_store_dwordx2 v[14:15], v[16:17], off
	v_pk_mul_f32 v[14:15], v[24:25], s[18:19] op_sel:[1,0] op_sel_hi:[0,0]
	v_pk_mul_f32 v[16:17], v[32:33], s[14:15] op_sel:[1,0] op_sel_hi:[0,0]
	v_pk_fma_f32 v[26:27], v[22:23], s[12:13], v[14:15] op_sel_hi:[1,0,1]
	v_pk_fma_f32 v[14:15], v[22:23], s[12:13], v[14:15] op_sel_hi:[1,0,1] neg_lo:[0,0,1] neg_hi:[0,0,1]
	v_pk_mul_f32 v[24:25], v[30:31], s[22:23] op_sel:[1,0] op_sel_hi:[0,0]
	v_mov_b32_e32 v22, v26
	v_mov_b32_e32 v23, v15
	v_pk_fma_f32 v[30:31], v[28:29], s[4:5], v[16:17] op_sel_hi:[1,0,1]
	v_pk_fma_f32 v[16:17], v[28:29], s[4:5], v[16:17] op_sel_hi:[1,0,1] neg_lo:[0,0,1] neg_hi:[0,0,1]
	v_pk_mul_f32 v[20:21], v[46:47], s[16:17] op_sel:[1,0] op_sel_hi:[0,0]
	v_pk_add_f32 v[22:23], v[0:1], v[22:23]
	v_mov_b32_e32 v28, v30
	v_mov_b32_e32 v29, v17
	v_pk_add_f32 v[22:23], v[22:23], v[28:29]
	v_pk_fma_f32 v[28:29], v[34:35], s[6:7], v[20:21] op_sel_hi:[1,0,1]
	v_pk_fma_f32 v[20:21], v[34:35], s[6:7], v[20:21] op_sel_hi:[1,0,1] neg_lo:[0,0,1] neg_hi:[0,0,1]
	v_mov_b32_e32 v32, v28
	v_mov_b32_e32 v33, v21
	;; [unrolled: 1-line block ×3, first 2 shown]
	v_pk_add_f32 v[22:23], v[22:23], v[32:33]
	v_pk_fma_f32 v[32:33], v[48:49], s[0:1], v[24:25] op_sel_hi:[1,0,1]
	v_pk_fma_f32 v[24:25], v[48:49], s[0:1], v[24:25] op_sel_hi:[1,0,1] neg_lo:[0,0,1] neg_hi:[0,0,1]
	v_pk_add_f32 v[0:1], v[0:1], v[14:15]
	v_mov_b32_e32 v17, v31
	v_pk_mul_f32 v[18:19], v[18:19], s[10:11] op_sel:[1,0] op_sel_hi:[0,0]
	v_mov_b32_e32 v34, v32
	v_mov_b32_e32 v35, v25
	v_pk_add_f32 v[0:1], v[0:1], v[16:17]
	v_mov_b32_e32 v21, v29
	v_pk_add_f32 v[22:23], v[22:23], v[34:35]
	v_pk_fma_f32 v[34:35], v[52:53], s[2:3], v[18:19] op_sel_hi:[1,0,1]
	v_pk_fma_f32 v[18:19], v[52:53], s[2:3], v[18:19] op_sel_hi:[1,0,1] neg_lo:[0,0,1] neg_hi:[0,0,1]
	v_pk_add_f32 v[0:1], v[0:1], v[20:21]
	v_mov_b32_e32 v25, v33
	v_mov_b32_e32 v37, v19
	v_pk_add_f32 v[0:1], v[0:1], v[24:25]
	v_mov_b32_e32 v19, v35
	v_mov_b32_e32 v86, v84
	;; [unrolled: 1-line block ×4, first 2 shown]
	v_pk_add_f32 v[0:1], v[0:1], v[18:19]
	v_pk_add_f32 v[76:77], v[76:77], v[86:87]
	;; [unrolled: 1-line block ×4, first 2 shown]
	global_store_dwordx2 v[2:3], v[0:1], off
	global_store_dwordx2 v[4:5], v[22:23], off
	;; [unrolled: 1-line block ×6, first 2 shown]
.LBB0_15:
	s_endpgm
	.section	.rodata,"a",@progbits
	.p2align	6, 0x0
	.amdhsa_kernel fft_rtc_fwd_len1331_factors_11_11_11_wgs_242_tpt_121_halfLds_sp_op_CI_CI_sbrr_dirReg
		.amdhsa_group_segment_fixed_size 0
		.amdhsa_private_segment_fixed_size 0
		.amdhsa_kernarg_size 104
		.amdhsa_user_sgpr_count 2
		.amdhsa_user_sgpr_dispatch_ptr 0
		.amdhsa_user_sgpr_queue_ptr 0
		.amdhsa_user_sgpr_kernarg_segment_ptr 1
		.amdhsa_user_sgpr_dispatch_id 0
		.amdhsa_user_sgpr_kernarg_preload_length 0
		.amdhsa_user_sgpr_kernarg_preload_offset 0
		.amdhsa_user_sgpr_private_segment_size 0
		.amdhsa_uses_dynamic_stack 0
		.amdhsa_enable_private_segment 0
		.amdhsa_system_sgpr_workgroup_id_x 1
		.amdhsa_system_sgpr_workgroup_id_y 0
		.amdhsa_system_sgpr_workgroup_id_z 0
		.amdhsa_system_sgpr_workgroup_info 0
		.amdhsa_system_vgpr_workitem_id 0
		.amdhsa_next_free_vgpr 110
		.amdhsa_next_free_sgpr 48
		.amdhsa_accum_offset 112
		.amdhsa_reserve_vcc 1
		.amdhsa_float_round_mode_32 0
		.amdhsa_float_round_mode_16_64 0
		.amdhsa_float_denorm_mode_32 3
		.amdhsa_float_denorm_mode_16_64 3
		.amdhsa_dx10_clamp 1
		.amdhsa_ieee_mode 1
		.amdhsa_fp16_overflow 0
		.amdhsa_tg_split 0
		.amdhsa_exception_fp_ieee_invalid_op 0
		.amdhsa_exception_fp_denorm_src 0
		.amdhsa_exception_fp_ieee_div_zero 0
		.amdhsa_exception_fp_ieee_overflow 0
		.amdhsa_exception_fp_ieee_underflow 0
		.amdhsa_exception_fp_ieee_inexact 0
		.amdhsa_exception_int_div_zero 0
	.end_amdhsa_kernel
	.text
.Lfunc_end0:
	.size	fft_rtc_fwd_len1331_factors_11_11_11_wgs_242_tpt_121_halfLds_sp_op_CI_CI_sbrr_dirReg, .Lfunc_end0-fft_rtc_fwd_len1331_factors_11_11_11_wgs_242_tpt_121_halfLds_sp_op_CI_CI_sbrr_dirReg
                                        ; -- End function
	.section	.AMDGPU.csdata,"",@progbits
; Kernel info:
; codeLenInByte = 8752
; NumSgprs: 54
; NumVgprs: 110
; NumAgprs: 0
; TotalNumVgprs: 110
; ScratchSize: 0
; MemoryBound: 0
; FloatMode: 240
; IeeeMode: 1
; LDSByteSize: 0 bytes/workgroup (compile time only)
; SGPRBlocks: 6
; VGPRBlocks: 13
; NumSGPRsForWavesPerEU: 54
; NumVGPRsForWavesPerEU: 110
; AccumOffset: 112
; Occupancy: 4
; WaveLimiterHint : 1
; COMPUTE_PGM_RSRC2:SCRATCH_EN: 0
; COMPUTE_PGM_RSRC2:USER_SGPR: 2
; COMPUTE_PGM_RSRC2:TRAP_HANDLER: 0
; COMPUTE_PGM_RSRC2:TGID_X_EN: 1
; COMPUTE_PGM_RSRC2:TGID_Y_EN: 0
; COMPUTE_PGM_RSRC2:TGID_Z_EN: 0
; COMPUTE_PGM_RSRC2:TIDIG_COMP_CNT: 0
; COMPUTE_PGM_RSRC3_GFX90A:ACCUM_OFFSET: 27
; COMPUTE_PGM_RSRC3_GFX90A:TG_SPLIT: 0
	.text
	.p2alignl 6, 3212836864
	.fill 256, 4, 3212836864
	.type	__hip_cuid_10a617e0011ec04a,@object ; @__hip_cuid_10a617e0011ec04a
	.section	.bss,"aw",@nobits
	.globl	__hip_cuid_10a617e0011ec04a
__hip_cuid_10a617e0011ec04a:
	.byte	0                               ; 0x0
	.size	__hip_cuid_10a617e0011ec04a, 1

	.ident	"AMD clang version 19.0.0git (https://github.com/RadeonOpenCompute/llvm-project roc-6.4.0 25133 c7fe45cf4b819c5991fe208aaa96edf142730f1d)"
	.section	".note.GNU-stack","",@progbits
	.addrsig
	.addrsig_sym __hip_cuid_10a617e0011ec04a
	.amdgpu_metadata
---
amdhsa.kernels:
  - .agpr_count:     0
    .args:
      - .actual_access:  read_only
        .address_space:  global
        .offset:         0
        .size:           8
        .value_kind:     global_buffer
      - .offset:         8
        .size:           8
        .value_kind:     by_value
      - .actual_access:  read_only
        .address_space:  global
        .offset:         16
        .size:           8
        .value_kind:     global_buffer
      - .actual_access:  read_only
        .address_space:  global
        .offset:         24
        .size:           8
        .value_kind:     global_buffer
      - .actual_access:  read_only
        .address_space:  global
        .offset:         32
        .size:           8
        .value_kind:     global_buffer
      - .offset:         40
        .size:           8
        .value_kind:     by_value
      - .actual_access:  read_only
        .address_space:  global
        .offset:         48
        .size:           8
        .value_kind:     global_buffer
      - .actual_access:  read_only
        .address_space:  global
        .offset:         56
        .size:           8
        .value_kind:     global_buffer
      - .offset:         64
        .size:           4
        .value_kind:     by_value
      - .actual_access:  read_only
        .address_space:  global
        .offset:         72
        .size:           8
        .value_kind:     global_buffer
      - .actual_access:  read_only
        .address_space:  global
        .offset:         80
        .size:           8
        .value_kind:     global_buffer
      - .actual_access:  read_only
        .address_space:  global
        .offset:         88
        .size:           8
        .value_kind:     global_buffer
      - .actual_access:  write_only
        .address_space:  global
        .offset:         96
        .size:           8
        .value_kind:     global_buffer
    .group_segment_fixed_size: 0
    .kernarg_segment_align: 8
    .kernarg_segment_size: 104
    .language:       OpenCL C
    .language_version:
      - 2
      - 0
    .max_flat_workgroup_size: 242
    .name:           fft_rtc_fwd_len1331_factors_11_11_11_wgs_242_tpt_121_halfLds_sp_op_CI_CI_sbrr_dirReg
    .private_segment_fixed_size: 0
    .sgpr_count:     54
    .sgpr_spill_count: 0
    .symbol:         fft_rtc_fwd_len1331_factors_11_11_11_wgs_242_tpt_121_halfLds_sp_op_CI_CI_sbrr_dirReg.kd
    .uniform_work_group_size: 1
    .uses_dynamic_stack: false
    .vgpr_count:     110
    .vgpr_spill_count: 0
    .wavefront_size: 64
amdhsa.target:   amdgcn-amd-amdhsa--gfx950
amdhsa.version:
  - 1
  - 2
...

	.end_amdgpu_metadata
